;; amdgpu-corpus repo=zjin-lcf/HeCBench kind=compiled arch=gfx90a opt=O3
	.text
	.amdgcn_target "amdgcn-amd-amdhsa--gfx90a"
	.amdhsa_code_object_version 6
	.protected	_Z11rng_wallacejPfS_PKf ; -- Begin function _Z11rng_wallacejPfS_PKf
	.globl	_Z11rng_wallacejPfS_PKf
	.p2align	8
	.type	_Z11rng_wallacejPfS_PKf,@function
_Z11rng_wallacejPfS_PKf:                ; @_Z11rng_wallacejPfS_PKf
; %bb.0:
	s_load_dwordx4 s[0:3], s[4:5], 0x8
	v_lshl_or_b32 v22, s6, 11, v0
	v_mov_b32_e32 v23, 0
	v_lshlrev_b64 v[18:19], 2, v[22:23]
	v_or_b32_e32 v4, 0x400, v22
	s_waitcnt lgkmcnt(0)
	v_mov_b32_e32 v1, s1
	v_add_co_u32_e32 v2, vcc, s0, v18
	v_mov_b32_e32 v5, v23
	v_addc_co_u32_e32 v3, vcc, v1, v19, vcc
	v_lshlrev_b64 v[14:15], 2, v[4:5]
	v_add_co_u32_e32 v4, vcc, s0, v14
	v_add_u32_e32 v6, 0x500, v22
	v_mov_b32_e32 v7, v23
	v_addc_co_u32_e32 v5, vcc, v1, v15, vcc
	v_lshlrev_b64 v[12:13], 2, v[6:7]
	v_add_co_u32_e32 v6, vcc, s0, v12
	v_add_u32_e32 v8, 0x600, v22
	;; [unrolled: 5-line block ×3, first 2 shown]
	v_addc_co_u32_e32 v9, vcc, v1, v17, vcc
	v_lshlrev_b64 v[20:21], 2, v[22:23]
	v_add_co_u32_e32 v10, vcc, s0, v20
	v_addc_co_u32_e32 v11, vcc, v1, v21, vcc
	global_load_dword v22, v[2:3], off
	global_load_dword v24, v[2:3], off offset:1024
	global_load_dword v25, v[2:3], off offset:2048
	;; [unrolled: 1-line block ×3, first 2 shown]
	global_load_dword v27, v[4:5], off
	global_load_dword v28, v[6:7], off
	;; [unrolled: 1-line block ×4, first 2 shown]
	s_mov_b32 s7, 0
	v_lshlrev_b32_e32 v1, 2, v0
	v_cmp_eq_u32_e32 vcc, 0, v0
	s_waitcnt vmcnt(6)
	ds_write2st64_b32 v1, v22, v24 offset1:4
	s_waitcnt vmcnt(4)
	ds_write2st64_b32 v1, v25, v26 offset0:8 offset1:12
	s_waitcnt vmcnt(2)
	ds_write2st64_b32 v1, v27, v28 offset0:16 offset1:20
	s_waitcnt vmcnt(0)
	ds_write2st64_b32 v1, v29, v30 offset0:24 offset1:28
	s_waitcnt lgkmcnt(0)
	s_barrier
	s_and_saveexec_b64 s[0:1], vcc
	s_cbranch_execz .LBB0_2
; %bb.1:
	s_load_dwordx2 s[8:9], s[4:5], 0x18
	s_lshl_b64 s[6:7], s[6:7], 2
	s_waitcnt lgkmcnt(0)
	s_add_u32 s6, s8, s6
	s_addc_u32 s7, s9, s7
	s_load_dword s6, s[6:7], 0x0
	s_waitcnt lgkmcnt(0)
	v_mov_b32_e32 v22, s6
	ds_write_b32 v23, v22 offset:8192
.LBB0_2:
	s_or_b64 exec, exec, s[0:1]
	s_waitcnt lgkmcnt(0)
	s_barrier
	ds_read_b32 v26, v23 offset:8192
	ds_read2st64_b32 v[22:23], v1 offset1:4
	v_mov_b32_e32 v27, s3
	v_add_co_u32_e32 v18, vcc, s2, v18
	v_addc_co_u32_e32 v19, vcc, v27, v19, vcc
	s_waitcnt lgkmcnt(0)
	v_mul_f32_e32 v22, v26, v22
	ds_read2st64_b32 v[24:25], v1 offset0:8 offset1:12
	global_store_dword v[18:19], v22, off
	v_mul_f32_e32 v22, v26, v23
	global_store_dword v[18:19], v22, off offset:1024
	ds_read2st64_b32 v[22:23], v1 offset0:16 offset1:20
	s_waitcnt lgkmcnt(1)
	v_mul_f32_e32 v24, v26, v24
	global_store_dword v[18:19], v24, off offset:2048
	v_mul_f32_e32 v24, v26, v25
	v_add_co_u32_e32 v14, vcc, s2, v14
	global_store_dword v[18:19], v24, off offset:3072
	s_waitcnt lgkmcnt(0)
	v_mul_f32_e32 v18, v26, v22
	v_addc_co_u32_e32 v15, vcc, v27, v15, vcc
	s_load_dword s0, s[4:5], 0x0
	global_store_dword v[14:15], v18, off
	ds_read2st64_b32 v[14:15], v1 offset0:24 offset1:28
	v_add_co_u32_e32 v12, vcc, s2, v12
	v_mul_f32_e32 v18, v26, v23
	v_addc_co_u32_e32 v13, vcc, v27, v13, vcc
	global_store_dword v[12:13], v18, off
	v_add_co_u32_e32 v12, vcc, s2, v16
	s_waitcnt lgkmcnt(0)
	s_mul_i32 s0, s0, 0x19660d
	v_mul_f32_e32 v14, v26, v14
	v_addc_co_u32_e32 v13, vcc, v27, v17, vcc
	s_add_i32 s0, s0, 0x3c6ef35f
	global_store_dword v[12:13], v14, off
	v_add_co_u32_e32 v12, vcc, s2, v20
	v_mul_f32_e32 v14, v26, v15
	v_addc_co_u32_e32 v13, vcc, v27, v21, vcc
	v_add_u32_e32 v0, s0, v0
	s_movk_i32 s0, 0x1e20
	global_store_dword v[12:13], v14, off
	v_mul_lo_u32 v12, v0, s0
	s_mov_b32 s0, 0x1c5c20
	v_mul_lo_u32 v13, v0, s0
	s_mov_b32 s0, 0x1ab2ba20
	;; [unrolled: 2-line block ×7, first 2 shown]
	v_mul_lo_u32 v0, v0, s0
	v_add_u32_e32 v0, 0xf04eb4c0, v0
	v_add_u32_e32 v12, 0x760, v12
	;; [unrolled: 1-line block ×8, first 2 shown]
	v_and_b32_e32 v0, 0x7f8, v0
	v_and_b32_e32 v12, 0x1fe0, v12
	v_and_b32_e32 v13, 0x1fe0, v13
	v_and_b32_e32 v14, 0x1fe0, v14
	v_and_b32_e32 v15, 0x1fe0, v15
	v_and_b32_e32 v16, 0x1fe0, v16
	v_and_b32_e32 v17, 0x1fe0, v17
	v_and_b32_e32 v18, 0x1fe0, v18
	v_lshlrev_b32_e32 v0, 2, v0
	ds_read_b32 v12, v12
	ds_read_b32 v13, v13 offset:4
	ds_read_b32 v14, v14 offset:8
	;; [unrolled: 1-line block ×7, first 2 shown]
	s_waitcnt lgkmcnt(6)
	v_add_f32_e32 v19, v12, v13
	s_waitcnt lgkmcnt(5)
	v_add_f32_e32 v19, v19, v14
	;; [unrolled: 2-line block ×3, first 2 shown]
	v_fmac_f32_e32 v12, -0.5, v19
	v_fmac_f32_e32 v13, -0.5, v19
	s_waitcnt lgkmcnt(0)
	s_barrier
	v_fma_f32 v14, v19, 0.5, -v14
	v_fma_f32 v15, v19, 0.5, -v15
	ds_write2st64_b32 v1, v12, v13 offset1:4
	ds_write2st64_b32 v1, v14, v15 offset0:8 offset1:12
	v_add_f32_e32 v12, v16, v17
	v_add_f32_e32 v12, v12, v18
	;; [unrolled: 1-line block ×3, first 2 shown]
	v_fma_f32 v13, v12, 0.5, -v16
	v_fma_f32 v14, v12, 0.5, -v17
	v_fmac_f32_e32 v18, -0.5, v12
	v_fmac_f32_e32 v0, -0.5, v12
	ds_write2st64_b32 v1, v13, v14 offset0:16 offset1:20
	ds_write2st64_b32 v1, v18, v0 offset0:24 offset1:28
	s_waitcnt lgkmcnt(0)
	s_barrier
	ds_read2st64_b32 v[12:13], v1 offset1:4
	ds_read2st64_b32 v[14:15], v1 offset0:8 offset1:12
	ds_read2st64_b32 v[16:17], v1 offset0:16 offset1:20
	;; [unrolled: 1-line block ×3, first 2 shown]
	s_waitcnt lgkmcnt(3)
	global_store_dword v[2:3], v12, off
	global_store_dword v[2:3], v13, off offset:1024
	s_waitcnt lgkmcnt(2)
	global_store_dword v[2:3], v14, off offset:2048
	global_store_dword v[2:3], v15, off offset:3072
	s_waitcnt lgkmcnt(1)
	global_store_dword v[4:5], v16, off
	global_store_dword v[6:7], v17, off
	s_waitcnt lgkmcnt(0)
	global_store_dword v[8:9], v0, off
	global_store_dword v[10:11], v1, off
	s_endpgm
	.section	.rodata,"a",@progbits
	.p2align	6, 0x0
	.amdhsa_kernel _Z11rng_wallacejPfS_PKf
		.amdhsa_group_segment_fixed_size 8196
		.amdhsa_private_segment_fixed_size 0
		.amdhsa_kernarg_size 32
		.amdhsa_user_sgpr_count 6
		.amdhsa_user_sgpr_private_segment_buffer 1
		.amdhsa_user_sgpr_dispatch_ptr 0
		.amdhsa_user_sgpr_queue_ptr 0
		.amdhsa_user_sgpr_kernarg_segment_ptr 1
		.amdhsa_user_sgpr_dispatch_id 0
		.amdhsa_user_sgpr_flat_scratch_init 0
		.amdhsa_user_sgpr_kernarg_preload_length 0
		.amdhsa_user_sgpr_kernarg_preload_offset 0
		.amdhsa_user_sgpr_private_segment_size 0
		.amdhsa_uses_dynamic_stack 0
		.amdhsa_system_sgpr_private_segment_wavefront_offset 0
		.amdhsa_system_sgpr_workgroup_id_x 1
		.amdhsa_system_sgpr_workgroup_id_y 0
		.amdhsa_system_sgpr_workgroup_id_z 0
		.amdhsa_system_sgpr_workgroup_info 0
		.amdhsa_system_vgpr_workitem_id 0
		.amdhsa_next_free_vgpr 31
		.amdhsa_next_free_sgpr 10
		.amdhsa_accum_offset 32
		.amdhsa_reserve_vcc 1
		.amdhsa_reserve_flat_scratch 0
		.amdhsa_float_round_mode_32 0
		.amdhsa_float_round_mode_16_64 0
		.amdhsa_float_denorm_mode_32 3
		.amdhsa_float_denorm_mode_16_64 3
		.amdhsa_dx10_clamp 1
		.amdhsa_ieee_mode 1
		.amdhsa_fp16_overflow 0
		.amdhsa_tg_split 0
		.amdhsa_exception_fp_ieee_invalid_op 0
		.amdhsa_exception_fp_denorm_src 0
		.amdhsa_exception_fp_ieee_div_zero 0
		.amdhsa_exception_fp_ieee_overflow 0
		.amdhsa_exception_fp_ieee_underflow 0
		.amdhsa_exception_fp_ieee_inexact 0
		.amdhsa_exception_int_div_zero 0
	.end_amdhsa_kernel
	.text
.Lfunc_end0:
	.size	_Z11rng_wallacejPfS_PKf, .Lfunc_end0-_Z11rng_wallacejPfS_PKf
                                        ; -- End function
	.section	.AMDGPU.csdata,"",@progbits
; Kernel info:
; codeLenInByte = 1144
; NumSgprs: 14
; NumVgprs: 31
; NumAgprs: 0
; TotalNumVgprs: 31
; ScratchSize: 0
; MemoryBound: 0
; FloatMode: 240
; IeeeMode: 1
; LDSByteSize: 8196 bytes/workgroup (compile time only)
; SGPRBlocks: 1
; VGPRBlocks: 3
; NumSGPRsForWavesPerEU: 14
; NumVGPRsForWavesPerEU: 31
; AccumOffset: 32
; Occupancy: 8
; WaveLimiterHint : 1
; COMPUTE_PGM_RSRC2:SCRATCH_EN: 0
; COMPUTE_PGM_RSRC2:USER_SGPR: 6
; COMPUTE_PGM_RSRC2:TRAP_HANDLER: 0
; COMPUTE_PGM_RSRC2:TGID_X_EN: 1
; COMPUTE_PGM_RSRC2:TGID_Y_EN: 0
; COMPUTE_PGM_RSRC2:TGID_Z_EN: 0
; COMPUTE_PGM_RSRC2:TIDIG_COMP_CNT: 0
; COMPUTE_PGM_RSRC3_GFX90A:ACCUM_OFFSET: 7
; COMPUTE_PGM_RSRC3_GFX90A:TG_SPLIT: 0
	.text
	.p2alignl 6, 3212836864
	.fill 256, 4, 3212836864
	.type	__hip_cuid_d9fcda4bc800bf24,@object ; @__hip_cuid_d9fcda4bc800bf24
	.section	.bss,"aw",@nobits
	.globl	__hip_cuid_d9fcda4bc800bf24
__hip_cuid_d9fcda4bc800bf24:
	.byte	0                               ; 0x0
	.size	__hip_cuid_d9fcda4bc800bf24, 1

	.ident	"AMD clang version 19.0.0git (https://github.com/RadeonOpenCompute/llvm-project roc-6.4.0 25133 c7fe45cf4b819c5991fe208aaa96edf142730f1d)"
	.section	".note.GNU-stack","",@progbits
	.addrsig
	.addrsig_sym __hip_cuid_d9fcda4bc800bf24
	.amdgpu_metadata
---
amdhsa.kernels:
  - .agpr_count:     0
    .args:
      - .offset:         0
        .size:           4
        .value_kind:     by_value
      - .address_space:  global
        .offset:         8
        .size:           8
        .value_kind:     global_buffer
      - .actual_access:  write_only
        .address_space:  global
        .offset:         16
        .size:           8
        .value_kind:     global_buffer
      - .address_space:  global
        .offset:         24
        .size:           8
        .value_kind:     global_buffer
    .group_segment_fixed_size: 8196
    .kernarg_segment_align: 8
    .kernarg_segment_size: 32
    .language:       OpenCL C
    .language_version:
      - 2
      - 0
    .max_flat_workgroup_size: 1024
    .name:           _Z11rng_wallacejPfS_PKf
    .private_segment_fixed_size: 0
    .sgpr_count:     14
    .sgpr_spill_count: 0
    .symbol:         _Z11rng_wallacejPfS_PKf.kd
    .uniform_work_group_size: 1
    .uses_dynamic_stack: false
    .vgpr_count:     31
    .vgpr_spill_count: 0
    .wavefront_size: 64
amdhsa.target:   amdgcn-amd-amdhsa--gfx90a
amdhsa.version:
  - 1
  - 2
...

	.end_amdgpu_metadata
